;; amdgpu-corpus repo=ROCm/rocFFT kind=compiled arch=gfx906 opt=O3
	.text
	.amdgcn_target "amdgcn-amd-amdhsa--gfx906"
	.amdhsa_code_object_version 6
	.protected	fft_rtc_back_len240_factors_8_5_6_wgs_384_tpt_48_half_ip_CI_sbcc_twdbase8_3step_dirReg ; -- Begin function fft_rtc_back_len240_factors_8_5_6_wgs_384_tpt_48_half_ip_CI_sbcc_twdbase8_3step_dirReg
	.globl	fft_rtc_back_len240_factors_8_5_6_wgs_384_tpt_48_half_ip_CI_sbcc_twdbase8_3step_dirReg
	.p2align	8
	.type	fft_rtc_back_len240_factors_8_5_6_wgs_384_tpt_48_half_ip_CI_sbcc_twdbase8_3step_dirReg,@function
fft_rtc_back_len240_factors_8_5_6_wgs_384_tpt_48_half_ip_CI_sbcc_twdbase8_3step_dirReg: ; @fft_rtc_back_len240_factors_8_5_6_wgs_384_tpt_48_half_ip_CI_sbcc_twdbase8_3step_dirReg
; %bb.0:
	s_load_dwordx4 s[0:3], s[4:5], 0x18
	s_mov_b32 s7, 0
	s_mov_b64 s[24:25], 0
	s_waitcnt lgkmcnt(0)
	s_load_dwordx2 s[20:21], s[0:1], 0x8
	s_waitcnt lgkmcnt(0)
	s_add_u32 s8, s20, -1
	s_addc_u32 s9, s21, -1
	s_lshr_b64 s[8:9], s[8:9], 3
	s_add_u32 s22, s8, 1
	s_addc_u32 s23, s9, 0
	v_mov_b32_e32 v1, s22
	v_mov_b32_e32 v2, s23
	v_cmp_lt_u64_e32 vcc, s[6:7], v[1:2]
	s_cbranch_vccnz .LBB0_2
; %bb.1:
	v_cvt_f32_u32_e32 v1, s22
	s_sub_i32 s8, 0, s22
	s_mov_b32 s25, s7
	v_rcp_iflag_f32_e32 v1, v1
	v_mul_f32_e32 v1, 0x4f7ffffe, v1
	v_cvt_u32_f32_e32 v1, v1
	v_readfirstlane_b32 s9, v1
	s_mul_i32 s8, s8, s9
	s_mul_hi_u32 s8, s9, s8
	s_add_i32 s9, s9, s8
	s_mul_hi_u32 s8, s6, s9
	s_mul_i32 s10, s8, s22
	s_sub_i32 s10, s6, s10
	s_add_i32 s9, s8, 1
	s_sub_i32 s11, s10, s22
	s_cmp_ge_u32 s10, s22
	s_cselect_b32 s8, s9, s8
	s_cselect_b32 s10, s11, s10
	s_add_i32 s9, s8, 1
	s_cmp_ge_u32 s10, s22
	s_cselect_b32 s24, s9, s8
.LBB0_2:
	s_load_dwordx2 s[16:17], s[4:5], 0x58
	s_load_dwordx4 s[8:11], s[2:3], 0x0
	s_load_dwordx2 s[18:19], s[4:5], 0x0
	s_load_dwordx4 s[12:15], s[4:5], 0x8
	s_mul_i32 s4, s24, s23
	s_mul_hi_u32 s5, s24, s22
	s_add_i32 s5, s5, s4
	s_mul_i32 s4, s24, s22
	s_sub_u32 s26, s6, s4
	s_subb_u32 s27, 0, s5
	v_mov_b32_e32 v1, s26
	v_alignbit_b32 v1, s27, v1, 29
	s_lshl_b64 s[4:5], s[26:27], 3
	v_readfirstlane_b32 s26, v1
	s_waitcnt lgkmcnt(0)
	s_mul_i32 s26, s10, s26
	s_mul_hi_u32 s27, s10, s4
	s_add_i32 s26, s27, s26
	s_mul_i32 s27, s11, s4
	s_add_i32 s33, s26, s27
	v_cmp_lt_u64_e64 s[26:27], s[14:15], 3
	s_mul_i32 s40, s10, s4
	s_and_b64 vcc, exec, s[26:27]
	s_cbranch_vccnz .LBB0_12
; %bb.3:
	s_add_u32 s26, s2, 16
	s_addc_u32 s27, s3, 0
	s_add_u32 s28, s0, 16
	v_mov_b32_e32 v1, s14
	s_addc_u32 s29, s1, 0
	s_mov_b64 s[30:31], 2
	s_mov_b32 s34, 0
	v_mov_b32_e32 v2, s15
.LBB0_4:                                ; =>This Inner Loop Header: Depth=1
	s_load_dwordx2 s[36:37], s[28:29], 0x0
	s_waitcnt lgkmcnt(0)
	s_or_b64 s[0:1], s[24:25], s[36:37]
	s_mov_b32 s35, s1
	s_cmp_lg_u64 s[34:35], 0
	s_cbranch_scc0 .LBB0_9
; %bb.5:                                ;   in Loop: Header=BB0_4 Depth=1
	v_cvt_f32_u32_e32 v3, s36
	v_cvt_f32_u32_e32 v4, s37
	s_sub_u32 s0, 0, s36
	s_subb_u32 s1, 0, s37
	v_mac_f32_e32 v3, 0x4f800000, v4
	v_rcp_f32_e32 v3, v3
	v_mul_f32_e32 v3, 0x5f7ffffc, v3
	v_mul_f32_e32 v4, 0x2f800000, v3
	v_trunc_f32_e32 v4, v4
	v_mac_f32_e32 v3, 0xcf800000, v4
	v_cvt_u32_f32_e32 v4, v4
	v_cvt_u32_f32_e32 v3, v3
	v_readfirstlane_b32 s35, v4
	v_readfirstlane_b32 s38, v3
	s_mul_i32 s39, s0, s35
	s_mul_hi_u32 s42, s0, s38
	s_mul_i32 s41, s1, s38
	s_add_i32 s39, s42, s39
	s_mul_i32 s43, s0, s38
	s_add_i32 s39, s39, s41
	s_mul_hi_u32 s41, s38, s39
	s_mul_i32 s42, s38, s39
	s_mul_hi_u32 s38, s38, s43
	s_add_u32 s38, s38, s42
	s_addc_u32 s41, 0, s41
	s_mul_hi_u32 s44, s35, s43
	s_mul_i32 s43, s35, s43
	s_add_u32 s38, s38, s43
	s_mul_hi_u32 s42, s35, s39
	s_addc_u32 s38, s41, s44
	s_addc_u32 s41, s42, 0
	s_mul_i32 s39, s35, s39
	s_add_u32 s38, s38, s39
	s_addc_u32 s39, 0, s41
	v_add_co_u32_e32 v3, vcc, s38, v3
	s_cmp_lg_u64 vcc, 0
	s_addc_u32 s35, s35, s39
	v_readfirstlane_b32 s39, v3
	s_mul_i32 s38, s0, s35
	s_mul_hi_u32 s41, s0, s39
	s_add_i32 s38, s41, s38
	s_mul_i32 s1, s1, s39
	s_add_i32 s38, s38, s1
	s_mul_i32 s0, s0, s39
	s_mul_hi_u32 s41, s35, s0
	s_mul_i32 s42, s35, s0
	s_mul_i32 s44, s39, s38
	s_mul_hi_u32 s0, s39, s0
	s_mul_hi_u32 s43, s39, s38
	s_add_u32 s0, s0, s44
	s_addc_u32 s39, 0, s43
	s_add_u32 s0, s0, s42
	s_mul_hi_u32 s1, s35, s38
	s_addc_u32 s0, s39, s41
	s_addc_u32 s1, s1, 0
	s_mul_i32 s38, s35, s38
	s_add_u32 s0, s0, s38
	s_addc_u32 s1, 0, s1
	v_add_co_u32_e32 v3, vcc, s0, v3
	s_cmp_lg_u64 vcc, 0
	s_addc_u32 s0, s35, s1
	v_readfirstlane_b32 s38, v3
	s_mul_i32 s35, s24, s0
	s_mul_hi_u32 s39, s24, s38
	s_mul_hi_u32 s1, s24, s0
	s_add_u32 s35, s39, s35
	s_addc_u32 s1, 0, s1
	s_mul_hi_u32 s41, s25, s38
	s_mul_i32 s38, s25, s38
	s_add_u32 s35, s35, s38
	s_mul_hi_u32 s39, s25, s0
	s_addc_u32 s1, s1, s41
	s_addc_u32 s35, s39, 0
	s_mul_i32 s0, s25, s0
	s_add_u32 s38, s1, s0
	s_addc_u32 s35, 0, s35
	s_mul_i32 s0, s36, s35
	s_mul_hi_u32 s1, s36, s38
	s_add_i32 s0, s1, s0
	s_mul_i32 s1, s37, s38
	s_add_i32 s39, s0, s1
	s_mul_i32 s1, s36, s38
	v_mov_b32_e32 v3, s1
	s_sub_i32 s0, s25, s39
	v_sub_co_u32_e32 v3, vcc, s24, v3
	s_cmp_lg_u64 vcc, 0
	s_subb_u32 s41, s0, s37
	v_subrev_co_u32_e64 v4, s[0:1], s36, v3
	s_cmp_lg_u64 s[0:1], 0
	s_subb_u32 s0, s41, 0
	s_cmp_ge_u32 s0, s37
	v_readfirstlane_b32 s41, v4
	s_cselect_b32 s1, -1, 0
	s_cmp_ge_u32 s41, s36
	s_cselect_b32 s41, -1, 0
	s_cmp_eq_u32 s0, s37
	s_cselect_b32 s0, s41, s1
	s_add_u32 s1, s38, 1
	s_addc_u32 s41, s35, 0
	s_add_u32 s42, s38, 2
	s_addc_u32 s43, s35, 0
	s_cmp_lg_u32 s0, 0
	s_cselect_b32 s0, s42, s1
	s_cselect_b32 s1, s43, s41
	s_cmp_lg_u64 vcc, 0
	s_subb_u32 s39, s25, s39
	s_cmp_ge_u32 s39, s37
	v_readfirstlane_b32 s42, v3
	s_cselect_b32 s41, -1, 0
	s_cmp_ge_u32 s42, s36
	s_cselect_b32 s42, -1, 0
	s_cmp_eq_u32 s39, s37
	s_cselect_b32 s39, s42, s41
	s_cmp_lg_u32 s39, 0
	s_cselect_b32 s1, s1, s35
	s_cselect_b32 s0, s0, s38
	s_cbranch_execnz .LBB0_7
.LBB0_6:                                ;   in Loop: Header=BB0_4 Depth=1
	v_cvt_f32_u32_e32 v3, s36
	s_sub_i32 s0, 0, s36
	v_rcp_iflag_f32_e32 v3, v3
	v_mul_f32_e32 v3, 0x4f7ffffe, v3
	v_cvt_u32_f32_e32 v3, v3
	v_readfirstlane_b32 s1, v3
	s_mul_i32 s0, s0, s1
	s_mul_hi_u32 s0, s1, s0
	s_add_i32 s1, s1, s0
	s_mul_hi_u32 s0, s24, s1
	s_mul_i32 s35, s0, s36
	s_sub_i32 s35, s24, s35
	s_add_i32 s1, s0, 1
	s_sub_i32 s38, s35, s36
	s_cmp_ge_u32 s35, s36
	s_cselect_b32 s0, s1, s0
	s_cselect_b32 s35, s38, s35
	s_add_i32 s1, s0, 1
	s_cmp_ge_u32 s35, s36
	s_cselect_b32 s0, s1, s0
	s_mov_b32 s1, s34
.LBB0_7:                                ;   in Loop: Header=BB0_4 Depth=1
	s_mul_i32 s23, s36, s23
	s_mul_hi_u32 s35, s36, s22
	s_add_i32 s23, s35, s23
	s_mul_i32 s35, s37, s22
	s_add_i32 s23, s23, s35
	s_mul_i32 s35, s0, s37
	s_mul_hi_u32 s37, s0, s36
	s_load_dwordx2 s[38:39], s[26:27], 0x0
	s_add_i32 s35, s37, s35
	s_mul_i32 s37, s1, s36
	s_mul_i32 s22, s36, s22
	s_add_i32 s35, s35, s37
	s_mul_i32 s36, s0, s36
	s_sub_u32 s24, s24, s36
	s_subb_u32 s25, s25, s35
	s_waitcnt lgkmcnt(0)
	s_mul_i32 s25, s38, s25
	s_mul_hi_u32 s35, s38, s24
	s_add_i32 s25, s35, s25
	s_mul_i32 s35, s39, s24
	s_add_i32 s25, s25, s35
	s_mul_i32 s24, s38, s24
	s_add_u32 s40, s24, s40
	s_addc_u32 s33, s25, s33
	s_add_u32 s30, s30, 1
	s_addc_u32 s31, s31, 0
	;; [unrolled: 2-line block ×3, first 2 shown]
	v_cmp_ge_u64_e32 vcc, s[30:31], v[1:2]
	s_add_u32 s28, s28, 8
	s_addc_u32 s29, s29, 0
	s_cbranch_vccnz .LBB0_10
; %bb.8:                                ;   in Loop: Header=BB0_4 Depth=1
	s_mov_b64 s[24:25], s[0:1]
	s_branch .LBB0_4
.LBB0_9:                                ;   in Loop: Header=BB0_4 Depth=1
                                        ; implicit-def: $sgpr0_sgpr1
	s_branch .LBB0_6
.LBB0_10:
	v_mov_b32_e32 v1, s22
	v_mov_b32_e32 v2, s23
	v_cmp_lt_u64_e32 vcc, s[6:7], v[1:2]
	s_mov_b64 s[24:25], 0
	s_cbranch_vccnz .LBB0_12
; %bb.11:
	v_cvt_f32_u32_e32 v1, s22
	s_sub_i32 s0, 0, s22
	v_rcp_iflag_f32_e32 v1, v1
	v_mul_f32_e32 v1, 0x4f7ffffe, v1
	v_cvt_u32_f32_e32 v1, v1
	v_readfirstlane_b32 s1, v1
	s_mul_i32 s0, s0, s1
	s_mul_hi_u32 s0, s1, s0
	s_add_i32 s1, s1, s0
	s_mul_hi_u32 s0, s6, s1
	s_mul_i32 s7, s0, s22
	s_sub_i32 s6, s6, s7
	s_add_i32 s1, s0, 1
	s_sub_i32 s7, s6, s22
	s_cmp_ge_u32 s6, s22
	s_cselect_b32 s0, s1, s0
	s_cselect_b32 s6, s7, s6
	s_add_i32 s1, s0, 1
	s_cmp_ge_u32 s6, s22
	s_cselect_b32 s24, s1, s0
.LBB0_12:
	s_lshl_b64 s[0:1], s[14:15], 3
	s_add_u32 s0, s2, s0
	s_addc_u32 s1, s3, s1
	s_load_dwordx2 s[0:1], s[0:1], 0x0
	v_mov_b32_e32 v1, s20
	v_mov_b32_e32 v2, s21
	v_lshrrev_b32_e32 v8, 3, v0
	v_and_b32_e32 v9, 7, v0
	s_waitcnt lgkmcnt(0)
	s_mul_i32 s1, s1, s24
	s_mul_hi_u32 s2, s0, s24
	s_mul_i32 s0, s0, s24
	s_add_i32 s2, s2, s1
	s_add_u32 s6, s0, s40
	s_addc_u32 s7, s2, s33
	s_add_u32 s0, s4, 8
	s_addc_u32 s1, s5, 0
	v_cmp_le_u64_e32 vcc, s[0:1], v[1:2]
	s_movk_i32 s0, 0xf0
	v_cmp_gt_u32_e64 s[2:3], s0, v0
	s_and_b64 s[0:1], s[2:3], vcc
	v_add_u32_e32 v4, 30, v8
	v_add_u32_e32 v3, 60, v8
                                        ; implicit-def: $vgpr5
                                        ; implicit-def: $vgpr10
                                        ; implicit-def: $vgpr7
                                        ; implicit-def: $vgpr13
                                        ; implicit-def: $vgpr6
                                        ; implicit-def: $vgpr12
                                        ; implicit-def: $vgpr11
                                        ; implicit-def: $vgpr14
	s_and_saveexec_b64 s[14:15], s[0:1]
	s_cbranch_execz .LBB0_14
; %bb.13:
	v_mad_u64_u32 v[1:2], s[0:1], s10, v9, 0
	v_mad_u64_u32 v[5:6], s[0:1], s8, v8, 0
	;; [unrolled: 1-line block ×3, first 2 shown]
	v_mov_b32_e32 v2, v6
	v_mad_u64_u32 v[6:7], s[0:1], s9, v8, v[2:3]
	s_lshl_b64 s[0:1], s[6:7], 2
	s_add_u32 s22, s16, s0
	s_addc_u32 s0, s17, s1
	v_mov_b32_e32 v2, v10
	v_mov_b32_e32 v7, s0
	v_mad_u64_u32 v[10:11], s[0:1], s8, v4, 0
	v_lshlrev_b64 v[1:2], 2, v[1:2]
	v_add_u32_e32 v17, 0x5a, v8
	v_add_co_u32_e64 v27, s[0:1], s22, v1
	v_addc_co_u32_e64 v28, s[0:1], v7, v2, s[0:1]
	v_lshlrev_b64 v[1:2], 2, v[5:6]
	v_mov_b32_e32 v5, v11
	v_mad_u64_u32 v[5:6], s[0:1], s9, v4, v[5:6]
	v_mad_u64_u32 v[6:7], s[0:1], s8, v3, 0
	v_add_co_u32_e64 v1, s[0:1], v27, v1
	v_mov_b32_e32 v11, v5
	v_mov_b32_e32 v5, v7
	v_addc_co_u32_e64 v2, s[0:1], v28, v2, s[0:1]
	v_mad_u64_u32 v[12:13], s[0:1], s9, v3, v[5:6]
	v_mad_u64_u32 v[13:14], s[0:1], s8, v17, 0
	v_lshlrev_b64 v[10:11], 2, v[10:11]
	v_mov_b32_e32 v7, v12
	v_add_co_u32_e64 v15, s[0:1], v27, v10
	v_lshlrev_b64 v[5:6], 2, v[6:7]
	v_mov_b32_e32 v7, v14
	v_addc_co_u32_e64 v16, s[0:1], v28, v11, s[0:1]
	v_mad_u64_u32 v[10:11], s[0:1], s9, v17, v[7:8]
	v_add_u32_e32 v19, 0x78, v8
	v_mad_u64_u32 v[11:12], s[0:1], s8, v19, 0
	v_add_co_u32_e64 v17, s[0:1], v27, v5
	v_mov_b32_e32 v14, v10
	v_mov_b32_e32 v7, v12
	v_addc_co_u32_e64 v18, s[0:1], v28, v6, s[0:1]
	v_lshlrev_b64 v[5:6], 2, v[13:14]
	v_mad_u64_u32 v[12:13], s[0:1], s9, v19, v[7:8]
	v_add_u32_e32 v10, 0x96, v8
	v_mad_u64_u32 v[13:14], s[0:1], s8, v10, 0
	v_add_co_u32_e64 v19, s[0:1], v27, v5
	v_mov_b32_e32 v7, v14
	v_addc_co_u32_e64 v20, s[0:1], v28, v6, s[0:1]
	v_lshlrev_b64 v[5:6], 2, v[11:12]
	v_mad_u64_u32 v[10:11], s[0:1], s9, v10, v[7:8]
	v_add_u32_e32 v23, 0xb4, v8
	v_mad_u64_u32 v[11:12], s[0:1], s8, v23, 0
	v_add_co_u32_e64 v21, s[0:1], v27, v5
	v_mov_b32_e32 v14, v10
	v_mov_b32_e32 v7, v12
	v_addc_co_u32_e64 v22, s[0:1], v28, v6, s[0:1]
	v_lshlrev_b64 v[5:6], 2, v[13:14]
	v_mad_u64_u32 v[12:13], s[0:1], s9, v23, v[7:8]
	v_add_u32_e32 v10, 0xd2, v8
	v_mad_u64_u32 v[13:14], s[0:1], s8, v10, 0
	v_add_co_u32_e64 v23, s[0:1], v27, v5
	v_mov_b32_e32 v7, v14
	v_addc_co_u32_e64 v24, s[0:1], v28, v6, s[0:1]
	v_lshlrev_b64 v[5:6], 2, v[11:12]
	v_mad_u64_u32 v[10:11], s[0:1], s9, v10, v[7:8]
	v_add_co_u32_e64 v25, s[0:1], v27, v5
	v_mov_b32_e32 v14, v10
	v_addc_co_u32_e64 v26, s[0:1], v28, v6, s[0:1]
	v_lshlrev_b64 v[5:6], 2, v[13:14]
	v_add_co_u32_e64 v27, s[0:1], v27, v5
	v_addc_co_u32_e64 v28, s[0:1], v28, v6, s[0:1]
	global_load_dword v5, v[1:2], off
	global_load_dword v6, v[15:16], off
	;; [unrolled: 1-line block ×8, first 2 shown]
.LBB0_14:
	s_or_b64 exec, exec, s[14:15]
	v_mov_b32_e32 v2, s5
	v_or_b32_e32 v1, s4, v9
	v_cmp_gt_u64_e64 s[0:1], s[20:21], v[1:2]
	s_xor_b64 s[14:15], vcc, -1
	s_and_b64 s[4:5], s[2:3], s[0:1]
	s_and_b64 s[4:5], s[14:15], s[4:5]
	s_and_saveexec_b64 s[20:21], s[4:5]
	s_cbranch_execz .LBB0_16
; %bb.15:
	s_waitcnt vmcnt(6)
	v_mad_u64_u32 v[5:6], s[4:5], s10, v9, 0
	s_waitcnt vmcnt(3)
	v_mad_u64_u32 v[10:11], s[4:5], s8, v8, 0
	v_mov_b32_e32 v2, v6
	v_mad_u64_u32 v[6:7], s[4:5], s11, v9, v[2:3]
	v_mov_b32_e32 v2, v11
	s_waitcnt vmcnt(2)
	v_mad_u64_u32 v[11:12], s[4:5], s9, v8, v[2:3]
	s_lshl_b64 s[4:5], s[6:7], 2
	s_add_u32 s22, s16, s4
	s_addc_u32 s4, s17, s5
	v_mov_b32_e32 v2, s4
	s_waitcnt vmcnt(1)
	v_mad_u64_u32 v[12:13], s[4:5], s8, v4, 0
	v_lshlrev_b64 v[5:6], 2, v[5:6]
	v_add_co_u32_e64 v28, s[4:5], s22, v5
	v_addc_co_u32_e64 v29, s[4:5], v2, v6, s[4:5]
	v_mov_b32_e32 v2, v13
	v_lshlrev_b64 v[5:6], 2, v[10:11]
	v_mad_u64_u32 v[10:11], s[4:5], s9, v4, v[2:3]
	s_waitcnt vmcnt(0)
	v_mad_u64_u32 v[14:15], s[4:5], s8, v3, 0
	v_mov_b32_e32 v13, v10
	v_add_co_u32_e64 v16, s[4:5], v28, v5
	v_lshlrev_b64 v[4:5], 2, v[12:13]
	v_mov_b32_e32 v2, v15
	v_add_u32_e32 v12, 0x5a, v8
	v_addc_co_u32_e64 v17, s[4:5], v29, v6, s[4:5]
	v_mad_u64_u32 v[2:3], s[4:5], s9, v3, v[2:3]
	v_mad_u64_u32 v[6:7], s[4:5], s8, v12, 0
	v_add_co_u32_e64 v3, s[4:5], v28, v4
	v_mov_b32_e32 v15, v2
	v_mov_b32_e32 v2, v7
	v_addc_co_u32_e64 v4, s[4:5], v29, v5, s[4:5]
	v_lshlrev_b64 v[10:11], 2, v[14:15]
	v_mad_u64_u32 v[12:13], s[4:5], s9, v12, v[2:3]
	v_add_u32_e32 v15, 0x78, v8
	v_mad_u64_u32 v[13:14], s[4:5], s8, v15, 0
	v_add_co_u32_e64 v18, s[4:5], v28, v10
	v_mov_b32_e32 v7, v12
	v_mov_b32_e32 v2, v14
	v_addc_co_u32_e64 v19, s[4:5], v29, v11, s[4:5]
	v_lshlrev_b64 v[5:6], 2, v[6:7]
	v_mad_u64_u32 v[10:11], s[4:5], s9, v15, v[2:3]
	v_add_u32_e32 v7, 0x96, v8
	;; [unrolled: 8-line block ×3, first 2 shown]
	v_mad_u64_u32 v[13:14], s[4:5], s8, v7, 0
	v_add_co_u32_e64 v22, s[4:5], v28, v5
	v_mov_b32_e32 v2, v14
	v_addc_co_u32_e64 v23, s[4:5], v29, v6, s[4:5]
	v_lshlrev_b64 v[5:6], 2, v[11:12]
	v_mad_u64_u32 v[10:11], s[4:5], s9, v7, v[2:3]
	v_add_u32_e32 v7, 0xd2, v8
	v_mad_u64_u32 v[11:12], s[4:5], s8, v7, 0
	v_add_co_u32_e64 v24, s[4:5], v28, v5
	v_mov_b32_e32 v14, v10
	v_mov_b32_e32 v2, v12
	v_addc_co_u32_e64 v25, s[4:5], v29, v6, s[4:5]
	v_lshlrev_b64 v[5:6], 2, v[13:14]
	v_mad_u64_u32 v[12:13], s[4:5], s9, v7, v[2:3]
	v_add_co_u32_e64 v26, s[4:5], v28, v5
	v_addc_co_u32_e64 v27, s[4:5], v29, v6, s[4:5]
	v_lshlrev_b64 v[5:6], 2, v[11:12]
	v_add_co_u32_e64 v28, s[4:5], v28, v5
	v_addc_co_u32_e64 v29, s[4:5], v29, v6, s[4:5]
	global_load_dword v5, v[16:17], off
	global_load_dword v6, v[3:4], off
	;; [unrolled: 1-line block ×8, first 2 shown]
.LBB0_16:
	s_or_b64 exec, exec, s[20:21]
	s_waitcnt vmcnt(3)
	v_pk_add_f16 v15, v5, v10 neg_lo:[0,1] neg_hi:[0,1]
	s_waitcnt vmcnt(1)
	v_pk_add_f16 v16, v7, v13 neg_lo:[0,1] neg_hi:[0,1]
	v_pk_add_f16 v4, v6, v12 neg_lo:[0,1] neg_hi:[0,1]
	s_waitcnt vmcnt(0)
	v_pk_add_f16 v13, v11, v14 neg_lo:[0,1] neg_hi:[0,1]
	v_pk_add_f16 v2, v15, v16 op_sel:[0,1] op_sel_hi:[1,0]
	v_pk_add_f16 v3, v15, v16 op_sel:[0,1] op_sel_hi:[1,0] neg_lo:[0,1] neg_hi:[0,1]
	s_mov_b32 s20, 0xffff
	v_bfi_b32 v2, s20, v2, v3
	v_pk_add_f16 v3, v4, v13 op_sel:[0,1] op_sel_hi:[1,0]
	v_pk_add_f16 v10, v4, v13 op_sel:[0,1] op_sel_hi:[1,0] neg_lo:[0,1] neg_hi:[0,1]
	v_bfi_b32 v14, s20, v3, v10
	v_pk_fma_f16 v17, v15, 2.0, v2 op_sel_hi:[1,0,1] neg_lo:[0,0,1] neg_hi:[0,0,1]
	v_pk_fma_f16 v3, v4, 2.0, v14 op_sel_hi:[1,0,1] neg_lo:[0,0,1] neg_hi:[0,0,1]
	s_movk_i32 s21, 0x39a8
	v_pk_mul_f16 v10, v3, s21 op_sel_hi:[1,0]
	v_pk_fma_f16 v12, v3, s21, v17 op_sel_hi:[1,0,1] neg_lo:[1,0,0] neg_hi:[1,0,0]
	v_pk_add_f16 v3, v12, v10 op_sel:[0,1] op_sel_hi:[1,0]
	v_pk_add_f16 v10, v12, v10 op_sel:[0,1] op_sel_hi:[1,0] neg_lo:[0,1] neg_hi:[0,1]
	v_lshlrev_b32_e32 v12, 2, v9
	s_and_saveexec_b64 s[4:5], s[2:3]
	s_cbranch_execz .LBB0_18
; %bb.17:
	v_pk_fma_f16 v5, v5, 2.0, v15 op_sel_hi:[1,0,1] neg_lo:[0,0,1] neg_hi:[0,0,1]
	v_pk_fma_f16 v7, v7, 2.0, v16 op_sel_hi:[1,0,1] neg_lo:[0,0,1] neg_hi:[0,0,1]
	;; [unrolled: 1-line block ×4, first 2 shown]
	v_pk_add_f16 v7, v5, v7 neg_lo:[0,1] neg_hi:[0,1]
	v_pk_add_f16 v6, v4, v6 neg_lo:[0,1] neg_hi:[0,1]
	v_pk_mul_f16 v15, v14, s21 op_sel_hi:[1,0]
	v_pk_fma_f16 v14, v14, s21, v2 op_sel_hi:[1,0,1]
	v_pk_add_f16 v11, v7, v6 op_sel:[0,1] op_sel_hi:[1,0]
	v_pk_add_f16 v13, v7, v6 op_sel:[0,1] op_sel_hi:[1,0] neg_lo:[0,1] neg_hi:[0,1]
	v_pk_add_f16 v16, v14, v15 op_sel:[0,1] op_sel_hi:[1,0]
	v_pk_add_f16 v14, v14, v15 op_sel:[0,1] op_sel_hi:[1,0] neg_lo:[0,1] neg_hi:[0,1]
	v_lshlrev_b32_e32 v19, 8, v8
	v_bfi_b32 v11, s20, v11, v13
	v_bfi_b32 v14, s20, v16, v14
	v_add3_u32 v19, 0, v19, v12
	v_pk_fma_f16 v13, v7, 2.0, v11 op_sel_hi:[1,0,1] neg_lo:[0,0,1] neg_hi:[0,0,1]
	v_pk_fma_f16 v2, v2, 2.0, v14 op_sel_hi:[1,0,1] neg_lo:[0,0,1] neg_hi:[0,0,1]
	ds_write2_b32 v19, v13, v2 offset0:16 offset1:24
	v_pk_fma_f16 v2, v5, 2.0, v7 op_sel_hi:[1,0,1] neg_lo:[0,0,1] neg_hi:[0,0,1]
	v_pk_fma_f16 v4, v4, 2.0, v6 op_sel_hi:[1,0,1] neg_lo:[0,0,1] neg_hi:[0,0,1]
	v_pk_add_f16 v4, v2, v4 neg_lo:[0,1] neg_hi:[0,1]
	v_lshrrev_b32_e32 v5, 16, v2
	v_lshrrev_b32_e32 v6, 16, v4
	v_fma_f16 v5, v5, 2.0, -v6
	v_bfi_b32 v18, s20, v3, v10
	v_lshlrev_b32_e32 v5, 16, v5
	v_fma_f16 v2, v2, 2.0, -v4
	v_pk_fma_f16 v17, v17, 2.0, v18 op_sel_hi:[1,0,1] neg_lo:[0,0,1] neg_hi:[0,0,1]
	v_or_b32_sdwa v2, v5, v2 dst_sel:DWORD dst_unused:UNUSED_PAD src0_sel:DWORD src1_sel:WORD_0
	ds_write2_b32 v19, v2, v17 offset1:8
	ds_write2_b32 v19, v4, v18 offset0:32 offset1:40
	ds_write2_b32 v19, v11, v14 offset0:48 offset1:56
.LBB0_18:
	s_or_b64 exec, exec, s[4:5]
	v_bfe_u32 v18, v0, 3, 3
	v_lshlrev_b32_e32 v2, 4, v18
	s_waitcnt lgkmcnt(0)
	s_barrier
	global_load_dwordx4 v[4:7], v2, s[18:19]
	v_lshlrev_b32_e32 v2, 5, v8
	v_add3_u32 v17, 0, v2, v12
	ds_read2st64_b32 v[13:14], v17 offset1:6
	ds_read2st64_b32 v[15:16], v17 offset0:12 offset1:18
	ds_read_b32 v2, v17 offset:6144
	ds_read_u16 v11, v17 offset:2
	s_mov_b32 s2, 0xbb9c
	s_movk_i32 s4, 0x3b9c
	s_waitcnt lgkmcnt(3)
	v_lshrrev_b32_e32 v19, 16, v14
	s_waitcnt lgkmcnt(2)
	v_lshrrev_b32_e32 v20, 16, v15
	v_lshrrev_b32_e32 v21, 16, v16
	s_waitcnt lgkmcnt(1)
	v_lshrrev_b32_e32 v22, 16, v2
	s_mov_b32 s3, 0xb8b4
	s_movk_i32 s5, 0x38b4
	s_movk_i32 s20, 0x34f2
	s_waitcnt vmcnt(0) lgkmcnt(0)
	s_barrier
	v_mul_f16_sdwa v23, v5, v20 dst_sel:DWORD dst_unused:UNUSED_PAD src0_sel:WORD_1 src1_sel:DWORD
	v_mul_f16_sdwa v24, v5, v15 dst_sel:DWORD dst_unused:UNUSED_PAD src0_sel:WORD_1 src1_sel:DWORD
	;; [unrolled: 1-line block ×5, first 2 shown]
	v_fma_f16 v15, v5, v15, v23
	v_mul_f16_sdwa v23, v7, v22 dst_sel:DWORD dst_unused:UNUSED_PAD src0_sel:WORD_1 src1_sel:DWORD
	v_mul_f16_sdwa v26, v6, v16 dst_sel:DWORD dst_unused:UNUSED_PAD src0_sel:WORD_1 src1_sel:DWORD
	v_fma_f16 v16, v6, v16, v25
	v_mul_f16_sdwa v25, v7, v2 dst_sel:DWORD dst_unused:UNUSED_PAD src0_sel:WORD_1 src1_sel:DWORD
	v_fma_f16 v19, v4, v19, -v27
	v_fma_f16 v4, v4, v14, v28
	v_fma_f16 v2, v7, v2, v23
	v_fma_f16 v5, v5, v20, -v24
	v_fma_f16 v6, v6, v21, -v26
	;; [unrolled: 1-line block ×3, first 2 shown]
	v_add_f16_e32 v20, v15, v16
	v_add_f16_e32 v23, v4, v2
	;; [unrolled: 1-line block ×3, first 2 shown]
	v_sub_f16_e32 v24, v15, v4
	v_sub_f16_e32 v25, v16, v2
	v_fma_f16 v20, v20, -0.5, v13
	v_fma_f16 v13, v23, -0.5, v13
	v_sub_f16_e32 v23, v5, v19
	v_sub_f16_e32 v28, v6, v7
	;; [unrolled: 1-line block ×6, first 2 shown]
	v_add_f16_e32 v24, v24, v25
	v_add_f16_e32 v25, v5, v6
	;; [unrolled: 1-line block ×5, first 2 shown]
	v_sub_f16_e32 v22, v15, v16
	v_add_f16_e32 v26, v26, v27
	v_add_f16_e32 v27, v19, v7
	v_add_f16_e32 v14, v14, v15
	v_sub_f16_e32 v15, v5, v6
	v_sub_f16_e32 v19, v19, v7
	;; [unrolled: 1-line block ×3, first 2 shown]
	v_fma_f16 v4, v25, -0.5, v11
	v_add_f16_e32 v5, v28, v5
	v_fma_f16 v25, v27, -0.5, v11
	v_add_f16_e32 v14, v14, v16
	v_add_f16_e32 v5, v5, v6
	v_fma_f16 v6, v19, s2, v20
	v_fma_f16 v11, v19, s4, v20
	;; [unrolled: 1-line block ×8, first 2 shown]
	v_add_f16_e32 v4, v14, v2
	v_fma_f16 v14, v22, s5, v20
	v_fma_f16 v19, v22, s3, v27
	;; [unrolled: 1-line block ×4, first 2 shown]
	v_add_f16_e32 v11, v5, v7
	v_fma_f16 v7, v24, s20, v13
	v_fma_f16 v13, v26, s20, v14
	;; [unrolled: 1-line block ×3, first 2 shown]
	v_lshrrev_b32_e32 v19, 6, v0
	v_mul_u32_u24_e32 v19, 40, v19
	v_fma_f16 v28, v22, s2, v25
	v_fma_f16 v5, v21, s20, v6
	;; [unrolled: 1-line block ×4, first 2 shown]
	v_or_b32_e32 v18, v19, v18
	v_fma_f16 v20, v29, s5, v28
	v_fma_f16 v16, v29, s3, v16
	v_lshlrev_b32_e32 v18, 5, v18
	v_fma_f16 v2, v21, s20, v15
	v_fma_f16 v15, v23, s20, v20
	;; [unrolled: 1-line block ×3, first 2 shown]
	v_add3_u32 v12, 0, v18, v12
	v_pack_b32_f16 v18, v4, v11
	v_pack_b32_f16 v19, v5, v13
	ds_write2st64_b32 v12, v18, v19 offset1:1
	v_pack_b32_f16 v18, v6, v15
	v_pack_b32_f16 v19, v7, v16
	s_movk_i32 s2, 0x140
	ds_write2st64_b32 v12, v18, v19 offset0:2 offset1:3
	v_pack_b32_f16 v18, v2, v14
	v_cmp_gt_u32_e64 s[2:3], s2, v0
	v_lshrrev_b32_e32 v0, 16, v10
	ds_write_b32 v12, v18 offset:1024
	s_waitcnt lgkmcnt(0)
	s_barrier
	s_and_saveexec_b64 s[4:5], s[2:3]
	s_cbranch_execz .LBB0_20
; %bb.19:
	ds_read2st64_b32 v[4:5], v17 offset1:5
	ds_read2st64_b32 v[6:7], v17 offset0:10 offset1:15
	ds_read2st64_b32 v[2:3], v17 offset0:20 offset1:25
	s_waitcnt lgkmcnt(2)
	v_lshrrev_b32_e32 v13, 16, v5
	s_waitcnt lgkmcnt(1)
	v_lshrrev_b32_e32 v15, 16, v6
	v_lshrrev_b32_e32 v16, 16, v7
	s_waitcnt lgkmcnt(0)
	v_lshrrev_b32_e32 v14, 16, v2
	v_lshrrev_b32_e32 v0, 16, v3
	;; [unrolled: 1-line block ×3, first 2 shown]
.LBB0_20:
	s_or_b64 exec, exec, s[4:5]
	v_mul_lo_u16_e32 v10, 13, v8
	v_lshrrev_b16_e32 v10, 9, v10
	v_mul_lo_u16_e32 v10, 40, v10
	v_sub_u16_e32 v10, v8, v10
	v_and_b32_e32 v10, 0xff, v10
	v_mul_u32_u24_e32 v12, 5, v10
	v_lshlrev_b32_e32 v12, 2, v12
	global_load_dwordx4 v[17:20], v12, s[18:19] offset:128
	global_load_dword v21, v12, s[18:19] offset:144
	v_mul_lo_u32 v22, v1, v10
	v_add_u32_e32 v23, 40, v10
	v_mul_lo_u32 v23, v1, v23
	v_mov_b32_e32 v12, 2
	v_add_u32_e32 v24, 0x50, v10
	v_mul_lo_u32 v24, v1, v24
	s_movk_i32 s5, 0x3aee
	s_mov_b32 s4, 0xbaee
	s_waitcnt vmcnt(1)
	v_mul_f16_sdwa v25, v15, v18 dst_sel:DWORD dst_unused:UNUSED_PAD src0_sel:DWORD src1_sel:WORD_1
	v_mul_f16_sdwa v26, v6, v18 dst_sel:DWORD dst_unused:UNUSED_PAD src0_sel:DWORD src1_sel:WORD_1
	;; [unrolled: 1-line block ×3, first 2 shown]
	v_fma_f16 v6, v6, v18, v25
	v_fma_f16 v25, v7, v19, v27
	v_mul_f16_sdwa v7, v7, v19 dst_sel:DWORD dst_unused:UNUSED_PAD src0_sel:DWORD src1_sel:WORD_1
	v_fma_f16 v15, v15, v18, -v26
	v_mul_f16_sdwa v18, v5, v17 dst_sel:DWORD dst_unused:UNUSED_PAD src0_sel:DWORD src1_sel:WORD_1
	v_fma_f16 v18, v13, v17, -v18
	;; [unrolled: 2-line block ×3, first 2 shown]
	v_mul_f16_sdwa v16, v2, v20 dst_sel:DWORD dst_unused:UNUSED_PAD src0_sel:DWORD src1_sel:WORD_1
	v_lshlrev_b32_sdwa v27, v12, v22 dst_sel:DWORD dst_unused:UNUSED_PAD src0_sel:DWORD src1_sel:BYTE_0
	v_fma_f16 v16, v14, v20, -v16
	v_mul_f16_sdwa v14, v14, v20 dst_sel:DWORD dst_unused:UNUSED_PAD src0_sel:DWORD src1_sel:WORD_1
	v_fma_f16 v5, v5, v17, v13
	v_lshlrev_b32_sdwa v13, v12, v22 dst_sel:DWORD dst_unused:UNUSED_PAD src0_sel:DWORD src1_sel:BYTE_1
	v_fma_f16 v2, v2, v20, v14
	v_lshlrev_b32_sdwa v14, v12, v22 dst_sel:DWORD dst_unused:UNUSED_PAD src0_sel:DWORD src1_sel:BYTE_2
	global_load_dword v17, v27, s[12:13]
	global_load_dword v19, v13, s[12:13] offset:1024
	v_lshlrev_b32_sdwa v13, v12, v23 dst_sel:DWORD dst_unused:UNUSED_PAD src0_sel:DWORD src1_sel:BYTE_0
	v_lshlrev_b32_sdwa v20, v12, v23 dst_sel:DWORD dst_unused:UNUSED_PAD src0_sel:DWORD src1_sel:BYTE_1
	v_lshlrev_b32_sdwa v22, v12, v23 dst_sel:DWORD dst_unused:UNUSED_PAD src0_sel:DWORD src1_sel:BYTE_2
	s_waitcnt vmcnt(2)
	v_mul_f16_sdwa v23, v0, v21 dst_sel:DWORD dst_unused:UNUSED_PAD src0_sel:DWORD src1_sel:WORD_1
	v_fma_f16 v23, v3, v21, v23
	v_mul_f16_sdwa v3, v3, v21 dst_sel:DWORD dst_unused:UNUSED_PAD src0_sel:DWORD src1_sel:WORD_1
	v_fma_f16 v0, v0, v21, -v3
	v_add_f16_e32 v3, v6, v2
	v_add_f16_e32 v21, v4, v6
	;; [unrolled: 1-line block ×3, first 2 shown]
	v_fma_f16 v27, v3, -0.5, v4
	v_add_f16_e32 v3, v5, v25
	v_add_f16_e32 v4, v18, v7
	v_sub_f16_e32 v6, v6, v2
	v_add_f16_e32 v21, v21, v2
	v_add_f16_e32 v2, v15, v16
	v_sub_f16_e32 v28, v15, v16
	;; [unrolled: 3-line block ×3, first 2 shown]
	v_add_f16_e32 v23, v3, v23
	v_sub_f16_e32 v26, v7, v0
	v_add_f16_e32 v3, v7, v0
	v_add_f16_e32 v7, v4, v0
	v_fma_f16 v11, v2, -0.5, v11
	global_load_dword v2, v13, s[12:13]
	global_load_dword v4, v20, s[12:13] offset:1024
	v_lshlrev_b32_sdwa v0, v12, v24 dst_sel:DWORD dst_unused:UNUSED_PAD src0_sel:DWORD src1_sel:BYTE_0
	v_lshlrev_b32_sdwa v13, v12, v24 dst_sel:DWORD dst_unused:UNUSED_PAD src0_sel:DWORD src1_sel:BYTE_1
	global_load_dword v20, v22, s[12:13] offset:2048
	global_load_dword v29, v0, s[12:13]
	global_load_dword v30, v13, s[12:13] offset:1024
	global_load_dword v31, v14, s[12:13] offset:2048
	v_fma_f16 v5, v16, -0.5, v5
	v_fma_f16 v13, v3, -0.5, v18
	s_waitcnt vmcnt(7)
	v_lshrrev_b32_e32 v0, 16, v17
	s_waitcnt vmcnt(6)
	v_mul_f16_sdwa v3, v17, v19 dst_sel:DWORD dst_unused:UNUSED_PAD src0_sel:DWORD src1_sel:WORD_1
	v_fma_f16 v3, v0, v19, v3
	v_mul_f16_sdwa v0, v0, v19 dst_sel:DWORD dst_unused:UNUSED_PAD src0_sel:DWORD src1_sel:WORD_1
	v_fma_f16 v0, v17, v19, -v0
	v_fma_f16 v19, v28, s4, v27
	s_waitcnt vmcnt(5)
	v_lshrrev_b32_e32 v14, 16, v2
	s_waitcnt vmcnt(4)
	v_mul_f16_sdwa v16, v2, v4 dst_sel:DWORD dst_unused:UNUSED_PAD src0_sel:DWORD src1_sel:WORD_1
	v_fma_f16 v16, v14, v4, v16
	v_mul_f16_sdwa v14, v14, v4 dst_sel:DWORD dst_unused:UNUSED_PAD src0_sel:DWORD src1_sel:WORD_1
	v_fma_f16 v2, v2, v4, -v14
	s_waitcnt vmcnt(0)
	v_mul_f16_sdwa v14, v3, v31 dst_sel:DWORD dst_unused:UNUSED_PAD src0_sel:DWORD src1_sel:WORD_1
	v_fma_f16 v14, v31, v0, -v14
	v_mul_f16_sdwa v0, v0, v31 dst_sel:DWORD dst_unused:UNUSED_PAD src0_sel:DWORD src1_sel:WORD_1
	v_mul_f16_sdwa v17, v16, v20 dst_sel:DWORD dst_unused:UNUSED_PAD src0_sel:DWORD src1_sel:WORD_1
	v_fma_f16 v0, v31, v3, v0
	v_add_f16_e32 v3, v15, v7
	v_fma_f16 v17, v20, v2, -v17
	v_mul_f16_sdwa v2, v2, v20 dst_sel:DWORD dst_unused:UNUSED_PAD src0_sel:DWORD src1_sel:WORD_1
	v_add_f16_e32 v4, v21, v23
	v_fma_f16 v16, v20, v16, v2
	v_mul_f16_e32 v2, v3, v0
	v_mul_f16_e32 v18, v4, v0
	v_fma_f16 v0, v4, v14, v2
	v_fma_f16 v4, v25, s5, v13
	v_fma_f16 v2, v3, v14, -v18
	v_fma_f16 v3, v26, s4, v5
	v_mul_f16_e32 v14, 0xbaee, v4
	v_mul_f16_e32 v4, 0.5, v4
	v_fma_f16 v18, v3, s5, v4
	v_fma_f16 v20, v6, s5, v11
	v_fma_f16 v14, v3, 0.5, v14
	v_add_f16_e32 v22, v20, v18
	v_add_f16_e32 v4, v19, v14
	v_mul_f16_e32 v3, v22, v16
	v_fma_f16 v3, v4, v17, v3
	v_mul_f16_e32 v4, v4, v16
	v_lshrrev_b32_e32 v16, 16, v29
	v_fma_f16 v4, v22, v17, -v4
	v_mul_f16_sdwa v17, v16, v30 dst_sel:DWORD dst_unused:UNUSED_PAD src0_sel:DWORD src1_sel:WORD_1
	v_mul_f16_sdwa v22, v29, v30 dst_sel:DWORD dst_unused:UNUSED_PAD src0_sel:DWORD src1_sel:WORD_1
	v_fma_f16 v17, v29, v30, -v17
	v_fma_f16 v16, v16, v30, v22
	v_add_u32_e32 v22, 0x78, v10
	v_add_u32_e32 v29, 0xa0, v10
	;; [unrolled: 1-line block ×3, first 2 shown]
	v_mul_lo_u32 v22, v1, v22
	v_mul_lo_u32 v29, v1, v29
	;; [unrolled: 1-line block ×3, first 2 shown]
	v_lshlrev_b32_sdwa v10, v12, v24 dst_sel:DWORD dst_unused:UNUSED_PAD src0_sel:DWORD src1_sel:BYTE_2
	global_load_dword v10, v10, s[12:13] offset:2048
	v_lshlrev_b32_sdwa v24, v12, v22 dst_sel:DWORD dst_unused:UNUSED_PAD src0_sel:DWORD src1_sel:BYTE_0
	v_lshlrev_b32_sdwa v30, v12, v22 dst_sel:DWORD dst_unused:UNUSED_PAD src0_sel:DWORD src1_sel:BYTE_1
	global_load_dword v24, v24, s[12:13]
	v_lshlrev_b32_sdwa v22, v12, v22 dst_sel:DWORD dst_unused:UNUSED_PAD src0_sel:DWORD src1_sel:BYTE_2
	global_load_dword v30, v30, s[12:13] offset:1024
	v_lshlrev_b32_sdwa v31, v12, v29 dst_sel:DWORD dst_unused:UNUSED_PAD src0_sel:DWORD src1_sel:BYTE_0
	global_load_dword v22, v22, s[12:13] offset:2048
	v_lshlrev_b32_sdwa v32, v12, v29 dst_sel:DWORD dst_unused:UNUSED_PAD src0_sel:DWORD src1_sel:BYTE_1
	v_lshlrev_b32_sdwa v29, v12, v29 dst_sel:DWORD dst_unused:UNUSED_PAD src0_sel:DWORD src1_sel:BYTE_2
	global_load_dword v33, v31, s[12:13]
	global_load_dword v34, v32, s[12:13] offset:1024
	global_load_dword v35, v29, s[12:13] offset:2048
	v_fma_f16 v6, v6, s4, v11
	v_fma_f16 v11, v25, s4, v13
	v_lshlrev_b32_sdwa v29, v12, v1 dst_sel:DWORD dst_unused:UNUSED_PAD src0_sel:DWORD src1_sel:BYTE_0
	v_fma_f16 v5, v26, s5, v5
	v_mul_f16_e32 v13, 0xbaee, v11
	v_mul_f16_e32 v11, -0.5, v11
	global_load_dword v29, v29, s[12:13]
	v_fma_f16 v13, v5, -0.5, v13
	v_fma_f16 v5, v5, s5, v11
	v_lshlrev_b32_sdwa v11, v12, v1 dst_sel:DWORD dst_unused:UNUSED_PAD src0_sel:DWORD src1_sel:BYTE_1
	v_lshlrev_b32_sdwa v1, v12, v1 dst_sel:DWORD dst_unused:UNUSED_PAD src0_sel:DWORD src1_sel:BYTE_2
	v_sub_f16_e32 v14, v19, v14
	s_waitcnt vmcnt(7)
	v_mul_f16_sdwa v31, v16, v10 dst_sel:DWORD dst_unused:UNUSED_PAD src0_sel:DWORD src1_sel:WORD_1
	v_fma_f16 v31, v10, v17, -v31
	v_mul_f16_sdwa v17, v17, v10 dst_sel:DWORD dst_unused:UNUSED_PAD src0_sel:DWORD src1_sel:WORD_1
	v_fma_f16 v10, v10, v16, v17
	global_load_dword v12, v11, s[12:13] offset:1024
	global_load_dword v17, v1, s[12:13] offset:2048
	v_fma_f16 v16, v28, s5, v27
	v_add_f16_e32 v19, v16, v13
	v_sub_f16_e32 v16, v16, v13
	v_sub_f16_e32 v13, v15, v7
	v_add_f16_e32 v7, v6, v5
	v_sub_f16_e32 v15, v20, v18
	v_sub_f16_e32 v18, v6, v5
	v_mul_f16_e32 v1, v7, v10
	v_mul_f16_e32 v5, v19, v10
	s_waitcnt vmcnt(8)
	v_lshrrev_b32_e32 v6, 16, v24
	s_waitcnt vmcnt(7)
	v_mul_f16_sdwa v10, v24, v30 dst_sel:DWORD dst_unused:UNUSED_PAD src0_sel:DWORD src1_sel:WORD_1
	v_fma_f16 v5, v7, v31, -v5
	v_mul_f16_sdwa v7, v6, v30 dst_sel:DWORD dst_unused:UNUSED_PAD src0_sel:DWORD src1_sel:WORD_1
	v_fma_f16 v6, v6, v30, v10
	v_fma_f16 v7, v24, v30, -v7
	s_waitcnt vmcnt(6)
	v_mul_f16_sdwa v10, v6, v22 dst_sel:DWORD dst_unused:UNUSED_PAD src0_sel:DWORD src1_sel:WORD_1
	v_fma_f16 v10, v22, v7, -v10
	v_mul_f16_sdwa v7, v7, v22 dst_sel:DWORD dst_unused:UNUSED_PAD src0_sel:DWORD src1_sel:WORD_1
	v_sub_f16_e32 v11, v21, v23
	v_fma_f16 v6, v22, v6, v7
	v_mul_f16_e32 v7, v13, v6
	v_mul_f16_e32 v6, v11, v6
	v_fma_f16 v7, v11, v10, v7
	v_fma_f16 v13, v13, v10, -v6
	s_waitcnt vmcnt(5)
	v_lshrrev_b32_e32 v6, 16, v33
	s_waitcnt vmcnt(4)
	v_mul_f16_sdwa v11, v33, v34 dst_sel:DWORD dst_unused:UNUSED_PAD src0_sel:DWORD src1_sel:WORD_1
	v_mul_f16_sdwa v10, v6, v34 dst_sel:DWORD dst_unused:UNUSED_PAD src0_sel:DWORD src1_sel:WORD_1
	v_fma_f16 v6, v6, v34, v11
	v_fma_f16 v10, v33, v34, -v10
	s_waitcnt vmcnt(3)
	v_mul_f16_sdwa v11, v6, v35 dst_sel:DWORD dst_unused:UNUSED_PAD src0_sel:DWORD src1_sel:WORD_1
	v_fma_f16 v11, v35, v10, -v11
	v_mul_f16_sdwa v10, v10, v35 dst_sel:DWORD dst_unused:UNUSED_PAD src0_sel:DWORD src1_sel:WORD_1
	v_fma_f16 v10, v35, v6, v10
	v_mul_f16_e32 v6, v15, v10
	v_mul_f16_e32 v10, v14, v10
	v_fma_f16 v6, v14, v11, v6
	v_fma_f16 v10, v15, v11, -v10
	s_waitcnt vmcnt(2)
	v_lshrrev_b32_e32 v11, 16, v29
	v_fma_f16 v1, v19, v31, v1
	s_and_b64 s[12:13], s[2:3], vcc
	s_waitcnt vmcnt(1)
	v_mul_f16_sdwa v15, v29, v12 dst_sel:DWORD dst_unused:UNUSED_PAD src0_sel:DWORD src1_sel:WORD_1
	v_mul_f16_sdwa v14, v11, v12 dst_sel:DWORD dst_unused:UNUSED_PAD src0_sel:DWORD src1_sel:WORD_1
	v_fma_f16 v11, v11, v12, v15
	v_fma_f16 v14, v29, v12, -v14
	s_waitcnt vmcnt(0)
	v_mul_f16_sdwa v12, v11, v17 dst_sel:DWORD dst_unused:UNUSED_PAD src0_sel:DWORD src1_sel:WORD_1
	v_fma_f16 v12, v17, v14, -v12
	v_mul_f16_sdwa v14, v14, v17 dst_sel:DWORD dst_unused:UNUSED_PAD src0_sel:DWORD src1_sel:WORD_1
	v_fma_f16 v14, v17, v11, v14
	v_mul_f16_e32 v11, v18, v14
	v_mul_f16_e32 v14, v16, v14
	v_fma_f16 v11, v16, v12, v11
	v_fma_f16 v12, v18, v12, -v14
	v_add_u32_e32 v14, 40, v8
	s_and_saveexec_b64 s[4:5], s[12:13]
	s_cbranch_execz .LBB0_22
; %bb.21:
	v_mad_u64_u32 v[15:16], s[12:13], s10, v9, 0
	v_mad_u64_u32 v[17:18], s[12:13], s8, v8, 0
	s_mov_b32 s18, 0x5040100
	v_add_u32_e32 v24, 0x78, v8
	v_mad_u64_u32 v[19:20], s[12:13], s11, v9, v[16:17]
	v_mov_b32_e32 v16, v18
	v_mad_u64_u32 v[20:21], s[12:13], s9, v8, v[16:17]
	v_mov_b32_e32 v16, v19
	s_lshl_b64 s[12:13], s[6:7], 2
	s_add_u32 s12, s16, s12
	v_lshlrev_b64 v[15:16], 2, v[15:16]
	s_addc_u32 s13, s17, s13
	v_mov_b32_e32 v18, v20
	v_mov_b32_e32 v19, s13
	v_add_co_u32_e32 v21, vcc, s12, v15
	v_addc_co_u32_e32 v22, vcc, v19, v16, vcc
	v_lshlrev_b64 v[15:16], 2, v[17:18]
	v_mad_u64_u32 v[17:18], s[12:13], s8, v14, 0
	v_add_co_u32_e32 v15, vcc, v21, v15
	v_mad_u64_u32 v[18:19], s[12:13], s9, v14, v[18:19]
	v_addc_co_u32_e32 v16, vcc, v22, v16, vcc
	v_perm_b32 v19, v2, v0, s18
	global_store_dword v[15:16], v19, off
	v_add_u32_e32 v19, 0x50, v8
	v_lshlrev_b64 v[15:16], 2, v[17:18]
	v_mad_u64_u32 v[17:18], s[12:13], s8, v19, 0
	v_add_co_u32_e32 v15, vcc, v21, v15
	v_mad_u64_u32 v[18:19], s[12:13], s9, v19, v[18:19]
	v_mad_u64_u32 v[19:20], s[12:13], s8, v24, 0
	v_addc_co_u32_e32 v16, vcc, v22, v16, vcc
	v_perm_b32 v23, v4, v3, s18
	global_store_dword v[15:16], v23, off
	v_lshlrev_b64 v[15:16], 2, v[17:18]
	v_mov_b32_e32 v17, v20
	v_mad_u64_u32 v[17:18], s[12:13], s9, v24, v[17:18]
	v_add_co_u32_e32 v15, vcc, v21, v15
	v_addc_co_u32_e32 v16, vcc, v22, v16, vcc
	v_perm_b32 v18, v5, v1, s18
	v_mov_b32_e32 v20, v17
	global_store_dword v[15:16], v18, off
	v_lshlrev_b64 v[15:16], 2, v[19:20]
	v_add_u32_e32 v19, 0xa0, v8
	v_mad_u64_u32 v[17:18], s[12:13], s8, v19, 0
	v_add_u32_e32 v24, 0xc8, v8
	v_add_co_u32_e32 v15, vcc, v21, v15
	v_mad_u64_u32 v[18:19], s[12:13], s9, v19, v[18:19]
	v_mad_u64_u32 v[19:20], s[12:13], s8, v24, 0
	v_addc_co_u32_e32 v16, vcc, v22, v16, vcc
	v_perm_b32 v23, v13, v7, s18
	global_store_dword v[15:16], v23, off
	v_lshlrev_b64 v[15:16], 2, v[17:18]
	v_mov_b32_e32 v17, v20
	v_mad_u64_u32 v[17:18], s[12:13], s9, v24, v[17:18]
	v_add_co_u32_e32 v15, vcc, v21, v15
	v_addc_co_u32_e32 v16, vcc, v22, v16, vcc
	v_perm_b32 v18, v10, v6, s18
	v_mov_b32_e32 v20, v17
	global_store_dword v[15:16], v18, off
	v_lshlrev_b64 v[15:16], 2, v[19:20]
	v_perm_b32 v17, v12, v11, s18
	v_add_co_u32_e32 v15, vcc, v21, v15
	v_addc_co_u32_e32 v16, vcc, v22, v16, vcc
	global_store_dword v[15:16], v17, off
.LBB0_22:
	s_or_b64 exec, exec, s[4:5]
	s_and_b64 s[0:1], s[2:3], s[0:1]
	s_and_b64 s[0:1], s[14:15], s[0:1]
	s_and_saveexec_b64 s[2:3], s[0:1]
	s_cbranch_execz .LBB0_24
; %bb.23:
	v_mad_u64_u32 v[15:16], s[0:1], s10, v9, 0
	v_mad_u64_u32 v[17:18], s[0:1], s8, v8, 0
	s_mov_b32 s2, 0x5040100
	v_perm_b32 v0, v2, v0, s2
	v_mad_u64_u32 v[19:20], s[0:1], s11, v9, v[16:17]
	v_mov_b32_e32 v9, v18
	v_mad_u64_u32 v[20:21], s[0:1], s9, v8, v[9:10]
	v_mov_b32_e32 v16, v19
	s_lshl_b64 s[0:1], s[6:7], 2
	s_add_u32 s0, s16, s0
	v_lshlrev_b64 v[15:16], 2, v[15:16]
	s_addc_u32 s1, s17, s1
	v_mov_b32_e32 v18, v20
	v_mov_b32_e32 v9, s1
	v_add_co_u32_e32 v20, vcc, s0, v15
	v_addc_co_u32_e32 v21, vcc, v9, v16, vcc
	v_lshlrev_b64 v[15:16], 2, v[17:18]
	v_mad_u64_u32 v[17:18], s[0:1], s8, v14, 0
	v_add_co_u32_e32 v15, vcc, v20, v15
	v_mov_b32_e32 v9, v18
	v_mad_u64_u32 v[18:19], s[0:1], s9, v14, v[9:10]
	v_addc_co_u32_e32 v16, vcc, v21, v16, vcc
	v_add_u32_e32 v2, 0x50, v8
	global_store_dword v[15:16], v0, off
	v_lshlrev_b64 v[14:15], 2, v[17:18]
	v_mad_u64_u32 v[16:17], s[0:1], s8, v2, 0
	v_perm_b32 v9, v4, v3, s2
	v_add_u32_e32 v18, 0x78, v8
	v_mov_b32_e32 v0, v17
	v_mad_u64_u32 v[2:3], s[0:1], s9, v2, v[0:1]
	v_mad_u64_u32 v[3:4], s[0:1], s8, v18, 0
	v_add_co_u32_e32 v14, vcc, v20, v14
	v_addc_co_u32_e32 v15, vcc, v21, v15, vcc
	v_mov_b32_e32 v17, v2
	v_mov_b32_e32 v0, v4
	global_store_dword v[14:15], v9, off
	v_lshlrev_b64 v[14:15], 2, v[16:17]
	v_mad_u64_u32 v[16:17], s[0:1], s9, v18, v[0:1]
	v_add_co_u32_e32 v14, vcc, v20, v14
	v_addc_co_u32_e32 v15, vcc, v21, v15, vcc
	v_perm_b32 v0, v5, v1, s2
	v_mov_b32_e32 v4, v16
	global_store_dword v[14:15], v0, off
	v_lshlrev_b64 v[0:1], 2, v[3:4]
	v_add_u32_e32 v4, 0xa0, v8
	v_mad_u64_u32 v[2:3], s[0:1], s8, v4, 0
	v_add_u32_e32 v8, 0xc8, v8
	v_add_co_u32_e32 v0, vcc, v20, v0
	v_mad_u64_u32 v[3:4], s[0:1], s9, v4, v[3:4]
	v_mad_u64_u32 v[4:5], s[0:1], s8, v8, 0
	v_addc_co_u32_e32 v1, vcc, v21, v1, vcc
	v_perm_b32 v7, v13, v7, s2
	global_store_dword v[0:1], v7, off
	v_lshlrev_b64 v[0:1], 2, v[2:3]
	v_mov_b32_e32 v2, v5
	v_mad_u64_u32 v[2:3], s[0:1], s9, v8, v[2:3]
	v_add_co_u32_e32 v0, vcc, v20, v0
	v_addc_co_u32_e32 v1, vcc, v21, v1, vcc
	v_perm_b32 v3, v10, v6, s2
	v_mov_b32_e32 v5, v2
	global_store_dword v[0:1], v3, off
	v_lshlrev_b64 v[0:1], 2, v[4:5]
	v_perm_b32 v2, v12, v11, s2
	v_add_co_u32_e32 v0, vcc, v20, v0
	v_addc_co_u32_e32 v1, vcc, v21, v1, vcc
	global_store_dword v[0:1], v2, off
.LBB0_24:
	s_endpgm
	.section	.rodata,"a",@progbits
	.p2align	6, 0x0
	.amdhsa_kernel fft_rtc_back_len240_factors_8_5_6_wgs_384_tpt_48_half_ip_CI_sbcc_twdbase8_3step_dirReg
		.amdhsa_group_segment_fixed_size 0
		.amdhsa_private_segment_fixed_size 0
		.amdhsa_kernarg_size 96
		.amdhsa_user_sgpr_count 6
		.amdhsa_user_sgpr_private_segment_buffer 1
		.amdhsa_user_sgpr_dispatch_ptr 0
		.amdhsa_user_sgpr_queue_ptr 0
		.amdhsa_user_sgpr_kernarg_segment_ptr 1
		.amdhsa_user_sgpr_dispatch_id 0
		.amdhsa_user_sgpr_flat_scratch_init 0
		.amdhsa_user_sgpr_private_segment_size 0
		.amdhsa_uses_dynamic_stack 0
		.amdhsa_system_sgpr_private_segment_wavefront_offset 0
		.amdhsa_system_sgpr_workgroup_id_x 1
		.amdhsa_system_sgpr_workgroup_id_y 0
		.amdhsa_system_sgpr_workgroup_id_z 0
		.amdhsa_system_sgpr_workgroup_info 0
		.amdhsa_system_vgpr_workitem_id 0
		.amdhsa_next_free_vgpr 36
		.amdhsa_next_free_sgpr 45
		.amdhsa_reserve_vcc 1
		.amdhsa_reserve_flat_scratch 0
		.amdhsa_float_round_mode_32 0
		.amdhsa_float_round_mode_16_64 0
		.amdhsa_float_denorm_mode_32 3
		.amdhsa_float_denorm_mode_16_64 3
		.amdhsa_dx10_clamp 1
		.amdhsa_ieee_mode 1
		.amdhsa_fp16_overflow 0
		.amdhsa_exception_fp_ieee_invalid_op 0
		.amdhsa_exception_fp_denorm_src 0
		.amdhsa_exception_fp_ieee_div_zero 0
		.amdhsa_exception_fp_ieee_overflow 0
		.amdhsa_exception_fp_ieee_underflow 0
		.amdhsa_exception_fp_ieee_inexact 0
		.amdhsa_exception_int_div_zero 0
	.end_amdhsa_kernel
	.text
.Lfunc_end0:
	.size	fft_rtc_back_len240_factors_8_5_6_wgs_384_tpt_48_half_ip_CI_sbcc_twdbase8_3step_dirReg, .Lfunc_end0-fft_rtc_back_len240_factors_8_5_6_wgs_384_tpt_48_half_ip_CI_sbcc_twdbase8_3step_dirReg
                                        ; -- End function
	.section	.AMDGPU.csdata,"",@progbits
; Kernel info:
; codeLenInByte = 5944
; NumSgprs: 49
; NumVgprs: 36
; ScratchSize: 0
; MemoryBound: 0
; FloatMode: 240
; IeeeMode: 1
; LDSByteSize: 0 bytes/workgroup (compile time only)
; SGPRBlocks: 6
; VGPRBlocks: 8
; NumSGPRsForWavesPerEU: 49
; NumVGPRsForWavesPerEU: 36
; Occupancy: 7
; WaveLimiterHint : 1
; COMPUTE_PGM_RSRC2:SCRATCH_EN: 0
; COMPUTE_PGM_RSRC2:USER_SGPR: 6
; COMPUTE_PGM_RSRC2:TRAP_HANDLER: 0
; COMPUTE_PGM_RSRC2:TGID_X_EN: 1
; COMPUTE_PGM_RSRC2:TGID_Y_EN: 0
; COMPUTE_PGM_RSRC2:TGID_Z_EN: 0
; COMPUTE_PGM_RSRC2:TIDIG_COMP_CNT: 0
	.type	__hip_cuid_f91ed70711f28787,@object ; @__hip_cuid_f91ed70711f28787
	.section	.bss,"aw",@nobits
	.globl	__hip_cuid_f91ed70711f28787
__hip_cuid_f91ed70711f28787:
	.byte	0                               ; 0x0
	.size	__hip_cuid_f91ed70711f28787, 1

	.ident	"AMD clang version 19.0.0git (https://github.com/RadeonOpenCompute/llvm-project roc-6.4.0 25133 c7fe45cf4b819c5991fe208aaa96edf142730f1d)"
	.section	".note.GNU-stack","",@progbits
	.addrsig
	.addrsig_sym __hip_cuid_f91ed70711f28787
	.amdgpu_metadata
---
amdhsa.kernels:
  - .args:
      - .actual_access:  read_only
        .address_space:  global
        .offset:         0
        .size:           8
        .value_kind:     global_buffer
      - .address_space:  global
        .offset:         8
        .size:           8
        .value_kind:     global_buffer
      - .offset:         16
        .size:           8
        .value_kind:     by_value
      - .actual_access:  read_only
        .address_space:  global
        .offset:         24
        .size:           8
        .value_kind:     global_buffer
      - .actual_access:  read_only
        .address_space:  global
        .offset:         32
        .size:           8
        .value_kind:     global_buffer
      - .offset:         40
        .size:           8
        .value_kind:     by_value
      - .actual_access:  read_only
        .address_space:  global
        .offset:         48
        .size:           8
        .value_kind:     global_buffer
      - .actual_access:  read_only
        .address_space:  global
        .offset:         56
        .size:           8
        .value_kind:     global_buffer
      - .offset:         64
        .size:           4
        .value_kind:     by_value
      - .actual_access:  read_only
        .address_space:  global
        .offset:         72
        .size:           8
        .value_kind:     global_buffer
      - .actual_access:  read_only
        .address_space:  global
        .offset:         80
        .size:           8
        .value_kind:     global_buffer
      - .address_space:  global
        .offset:         88
        .size:           8
        .value_kind:     global_buffer
    .group_segment_fixed_size: 0
    .kernarg_segment_align: 8
    .kernarg_segment_size: 96
    .language:       OpenCL C
    .language_version:
      - 2
      - 0
    .max_flat_workgroup_size: 384
    .name:           fft_rtc_back_len240_factors_8_5_6_wgs_384_tpt_48_half_ip_CI_sbcc_twdbase8_3step_dirReg
    .private_segment_fixed_size: 0
    .sgpr_count:     49
    .sgpr_spill_count: 0
    .symbol:         fft_rtc_back_len240_factors_8_5_6_wgs_384_tpt_48_half_ip_CI_sbcc_twdbase8_3step_dirReg.kd
    .uniform_work_group_size: 1
    .uses_dynamic_stack: false
    .vgpr_count:     36
    .vgpr_spill_count: 0
    .wavefront_size: 64
amdhsa.target:   amdgcn-amd-amdhsa--gfx906
amdhsa.version:
  - 1
  - 2
...

	.end_amdgpu_metadata
